;; amdgpu-corpus repo=ROCm/rocFFT kind=compiled arch=gfx906 opt=O3
	.text
	.amdgcn_target "amdgcn-amd-amdhsa--gfx906"
	.amdhsa_code_object_version 6
	.protected	fft_rtc_fwd_len1232_factors_2_2_2_2_11_7_wgs_176_tpt_176_halfLds_sp_op_CI_CI_unitstride_sbrr_R2C_dirReg ; -- Begin function fft_rtc_fwd_len1232_factors_2_2_2_2_11_7_wgs_176_tpt_176_halfLds_sp_op_CI_CI_unitstride_sbrr_R2C_dirReg
	.globl	fft_rtc_fwd_len1232_factors_2_2_2_2_11_7_wgs_176_tpt_176_halfLds_sp_op_CI_CI_unitstride_sbrr_R2C_dirReg
	.p2align	8
	.type	fft_rtc_fwd_len1232_factors_2_2_2_2_11_7_wgs_176_tpt_176_halfLds_sp_op_CI_CI_unitstride_sbrr_R2C_dirReg,@function
fft_rtc_fwd_len1232_factors_2_2_2_2_11_7_wgs_176_tpt_176_halfLds_sp_op_CI_CI_unitstride_sbrr_R2C_dirReg: ; @fft_rtc_fwd_len1232_factors_2_2_2_2_11_7_wgs_176_tpt_176_halfLds_sp_op_CI_CI_unitstride_sbrr_R2C_dirReg
; %bb.0:
	s_load_dwordx4 s[8:11], s[4:5], 0x58
	s_load_dwordx4 s[12:15], s[4:5], 0x0
	;; [unrolled: 1-line block ×3, first 2 shown]
	v_mul_u32_u24_e32 v1, 0x175, v0
	v_add_u32_sdwa v5, s6, v1 dst_sel:DWORD dst_unused:UNUSED_PAD src0_sel:DWORD src1_sel:WORD_1
	v_mov_b32_e32 v3, 0
	s_waitcnt lgkmcnt(0)
	v_cmp_lt_u64_e64 s[0:1], s[14:15], 2
	v_mov_b32_e32 v1, 0
	v_mov_b32_e32 v6, v3
	s_and_b64 vcc, exec, s[0:1]
	v_mov_b32_e32 v2, 0
	s_cbranch_vccnz .LBB0_8
; %bb.1:
	s_load_dwordx2 s[0:1], s[4:5], 0x10
	s_add_u32 s2, s18, 8
	s_addc_u32 s3, s19, 0
	s_add_u32 s6, s16, 8
	v_mov_b32_e32 v1, 0
	s_addc_u32 s7, s17, 0
	v_mov_b32_e32 v2, 0
	s_waitcnt lgkmcnt(0)
	s_add_u32 s20, s0, 8
	v_mov_b32_e32 v21, v2
	s_addc_u32 s21, s1, 0
	s_mov_b64 s[22:23], 1
	v_mov_b32_e32 v20, v1
.LBB0_2:                                ; =>This Inner Loop Header: Depth=1
	s_load_dwordx2 s[24:25], s[20:21], 0x0
                                        ; implicit-def: $vgpr22_vgpr23
	s_waitcnt lgkmcnt(0)
	v_or_b32_e32 v4, s25, v6
	v_cmp_ne_u64_e32 vcc, 0, v[3:4]
	s_and_saveexec_b64 s[0:1], vcc
	s_xor_b64 s[26:27], exec, s[0:1]
	s_cbranch_execz .LBB0_4
; %bb.3:                                ;   in Loop: Header=BB0_2 Depth=1
	v_cvt_f32_u32_e32 v4, s24
	v_cvt_f32_u32_e32 v7, s25
	s_sub_u32 s0, 0, s24
	s_subb_u32 s1, 0, s25
	v_mac_f32_e32 v4, 0x4f800000, v7
	v_rcp_f32_e32 v4, v4
	v_mul_f32_e32 v4, 0x5f7ffffc, v4
	v_mul_f32_e32 v7, 0x2f800000, v4
	v_trunc_f32_e32 v7, v7
	v_mac_f32_e32 v4, 0xcf800000, v7
	v_cvt_u32_f32_e32 v7, v7
	v_cvt_u32_f32_e32 v4, v4
	v_mul_lo_u32 v8, s0, v7
	v_mul_hi_u32 v9, s0, v4
	v_mul_lo_u32 v11, s1, v4
	v_mul_lo_u32 v10, s0, v4
	v_add_u32_e32 v8, v9, v8
	v_add_u32_e32 v8, v8, v11
	v_mul_hi_u32 v9, v4, v10
	v_mul_lo_u32 v11, v4, v8
	v_mul_hi_u32 v13, v4, v8
	v_mul_hi_u32 v12, v7, v10
	v_mul_lo_u32 v10, v7, v10
	v_mul_hi_u32 v14, v7, v8
	v_add_co_u32_e32 v9, vcc, v9, v11
	v_addc_co_u32_e32 v11, vcc, 0, v13, vcc
	v_mul_lo_u32 v8, v7, v8
	v_add_co_u32_e32 v9, vcc, v9, v10
	v_addc_co_u32_e32 v9, vcc, v11, v12, vcc
	v_addc_co_u32_e32 v10, vcc, 0, v14, vcc
	v_add_co_u32_e32 v8, vcc, v9, v8
	v_addc_co_u32_e32 v9, vcc, 0, v10, vcc
	v_add_co_u32_e32 v4, vcc, v4, v8
	v_addc_co_u32_e32 v7, vcc, v7, v9, vcc
	v_mul_lo_u32 v8, s0, v7
	v_mul_hi_u32 v9, s0, v4
	v_mul_lo_u32 v10, s1, v4
	v_mul_lo_u32 v11, s0, v4
	v_add_u32_e32 v8, v9, v8
	v_add_u32_e32 v8, v8, v10
	v_mul_lo_u32 v12, v4, v8
	v_mul_hi_u32 v13, v4, v11
	v_mul_hi_u32 v14, v4, v8
	v_mul_hi_u32 v10, v7, v11
	v_mul_lo_u32 v11, v7, v11
	v_mul_hi_u32 v9, v7, v8
	v_add_co_u32_e32 v12, vcc, v13, v12
	v_addc_co_u32_e32 v13, vcc, 0, v14, vcc
	v_mul_lo_u32 v8, v7, v8
	v_add_co_u32_e32 v11, vcc, v12, v11
	v_addc_co_u32_e32 v10, vcc, v13, v10, vcc
	v_addc_co_u32_e32 v9, vcc, 0, v9, vcc
	v_add_co_u32_e32 v8, vcc, v10, v8
	v_addc_co_u32_e32 v9, vcc, 0, v9, vcc
	v_add_co_u32_e32 v4, vcc, v4, v8
	v_addc_co_u32_e32 v9, vcc, v7, v9, vcc
	v_mad_u64_u32 v[7:8], s[0:1], v5, v9, 0
	v_mul_hi_u32 v10, v5, v4
	v_add_co_u32_e32 v11, vcc, v10, v7
	v_addc_co_u32_e32 v12, vcc, 0, v8, vcc
	v_mad_u64_u32 v[7:8], s[0:1], v6, v4, 0
	v_mad_u64_u32 v[9:10], s[0:1], v6, v9, 0
	v_add_co_u32_e32 v4, vcc, v11, v7
	v_addc_co_u32_e32 v4, vcc, v12, v8, vcc
	v_addc_co_u32_e32 v7, vcc, 0, v10, vcc
	v_add_co_u32_e32 v4, vcc, v4, v9
	v_addc_co_u32_e32 v9, vcc, 0, v7, vcc
	v_mul_lo_u32 v10, s25, v4
	v_mul_lo_u32 v11, s24, v9
	v_mad_u64_u32 v[7:8], s[0:1], s24, v4, 0
	v_add3_u32 v8, v8, v11, v10
	v_sub_u32_e32 v10, v6, v8
	v_mov_b32_e32 v11, s25
	v_sub_co_u32_e32 v7, vcc, v5, v7
	v_subb_co_u32_e64 v10, s[0:1], v10, v11, vcc
	v_subrev_co_u32_e64 v11, s[0:1], s24, v7
	v_subbrev_co_u32_e64 v10, s[0:1], 0, v10, s[0:1]
	v_cmp_le_u32_e64 s[0:1], s25, v10
	v_cndmask_b32_e64 v12, 0, -1, s[0:1]
	v_cmp_le_u32_e64 s[0:1], s24, v11
	v_cndmask_b32_e64 v11, 0, -1, s[0:1]
	v_cmp_eq_u32_e64 s[0:1], s25, v10
	v_cndmask_b32_e64 v10, v12, v11, s[0:1]
	v_add_co_u32_e64 v11, s[0:1], 2, v4
	v_addc_co_u32_e64 v12, s[0:1], 0, v9, s[0:1]
	v_add_co_u32_e64 v13, s[0:1], 1, v4
	v_addc_co_u32_e64 v14, s[0:1], 0, v9, s[0:1]
	v_subb_co_u32_e32 v8, vcc, v6, v8, vcc
	v_cmp_ne_u32_e64 s[0:1], 0, v10
	v_cmp_le_u32_e32 vcc, s25, v8
	v_cndmask_b32_e64 v10, v14, v12, s[0:1]
	v_cndmask_b32_e64 v12, 0, -1, vcc
	v_cmp_le_u32_e32 vcc, s24, v7
	v_cndmask_b32_e64 v7, 0, -1, vcc
	v_cmp_eq_u32_e32 vcc, s25, v8
	v_cndmask_b32_e32 v7, v12, v7, vcc
	v_cmp_ne_u32_e32 vcc, 0, v7
	v_cndmask_b32_e64 v7, v13, v11, s[0:1]
	v_cndmask_b32_e32 v23, v9, v10, vcc
	v_cndmask_b32_e32 v22, v4, v7, vcc
.LBB0_4:                                ;   in Loop: Header=BB0_2 Depth=1
	s_andn2_saveexec_b64 s[0:1], s[26:27]
	s_cbranch_execz .LBB0_6
; %bb.5:                                ;   in Loop: Header=BB0_2 Depth=1
	v_cvt_f32_u32_e32 v4, s24
	s_sub_i32 s26, 0, s24
	v_mov_b32_e32 v23, v3
	v_rcp_iflag_f32_e32 v4, v4
	v_mul_f32_e32 v4, 0x4f7ffffe, v4
	v_cvt_u32_f32_e32 v4, v4
	v_mul_lo_u32 v7, s26, v4
	v_mul_hi_u32 v7, v4, v7
	v_add_u32_e32 v4, v4, v7
	v_mul_hi_u32 v4, v5, v4
	v_mul_lo_u32 v7, v4, s24
	v_add_u32_e32 v8, 1, v4
	v_sub_u32_e32 v7, v5, v7
	v_subrev_u32_e32 v9, s24, v7
	v_cmp_le_u32_e32 vcc, s24, v7
	v_cndmask_b32_e32 v7, v7, v9, vcc
	v_cndmask_b32_e32 v4, v4, v8, vcc
	v_add_u32_e32 v8, 1, v4
	v_cmp_le_u32_e32 vcc, s24, v7
	v_cndmask_b32_e32 v22, v4, v8, vcc
.LBB0_6:                                ;   in Loop: Header=BB0_2 Depth=1
	s_or_b64 exec, exec, s[0:1]
	v_mul_lo_u32 v4, v23, s24
	v_mul_lo_u32 v9, v22, s25
	v_mad_u64_u32 v[7:8], s[0:1], v22, s24, 0
	s_load_dwordx2 s[0:1], s[6:7], 0x0
	s_load_dwordx2 s[24:25], s[2:3], 0x0
	v_add3_u32 v4, v8, v9, v4
	v_sub_co_u32_e32 v5, vcc, v5, v7
	v_subb_co_u32_e32 v4, vcc, v6, v4, vcc
	s_waitcnt lgkmcnt(0)
	v_mul_lo_u32 v6, s0, v4
	v_mul_lo_u32 v7, s1, v5
	v_mad_u64_u32 v[1:2], s[0:1], s0, v5, v[1:2]
	v_mul_lo_u32 v4, s24, v4
	v_mul_lo_u32 v8, s25, v5
	v_mad_u64_u32 v[20:21], s[0:1], s24, v5, v[20:21]
	s_add_u32 s22, s22, 1
	s_addc_u32 s23, s23, 0
	s_add_u32 s2, s2, 8
	v_add3_u32 v21, v8, v21, v4
	s_addc_u32 s3, s3, 0
	v_mov_b32_e32 v4, s14
	s_add_u32 s6, s6, 8
	v_mov_b32_e32 v5, s15
	s_addc_u32 s7, s7, 0
	v_cmp_ge_u64_e32 vcc, s[22:23], v[4:5]
	s_add_u32 s20, s20, 8
	v_add3_u32 v2, v7, v2, v6
	s_addc_u32 s21, s21, 0
	s_cbranch_vccnz .LBB0_9
; %bb.7:                                ;   in Loop: Header=BB0_2 Depth=1
	v_mov_b32_e32 v5, v22
	v_mov_b32_e32 v6, v23
	s_branch .LBB0_2
.LBB0_8:
	v_mov_b32_e32 v21, v2
	v_mov_b32_e32 v23, v6
	;; [unrolled: 1-line block ×4, first 2 shown]
.LBB0_9:
	s_load_dwordx2 s[4:5], s[4:5], 0x28
	s_lshl_b64 s[6:7], s[14:15], 3
	s_add_u32 s2, s18, s6
	s_addc_u32 s3, s19, s7
                                        ; implicit-def: $vgpr24
                                        ; implicit-def: $vgpr27
                                        ; implicit-def: $vgpr29
                                        ; implicit-def: $vgpr26
	s_waitcnt lgkmcnt(0)
	v_cmp_gt_u64_e64 s[0:1], s[4:5], v[22:23]
	v_cmp_le_u64_e32 vcc, s[4:5], v[22:23]
	s_and_saveexec_b64 s[4:5], vcc
	s_xor_b64 s[4:5], exec, s[4:5]
; %bb.10:
	s_mov_b32 s14, 0x1745d18
	v_mul_hi_u32 v1, v0, s14
	v_mul_u32_u24_e32 v1, 0xb0, v1
	v_sub_u32_e32 v24, v0, v1
	v_add_u32_e32 v27, 0xb0, v24
	v_add_u32_e32 v29, 0x160, v24
	;; [unrolled: 1-line block ×3, first 2 shown]
                                        ; implicit-def: $vgpr0
                                        ; implicit-def: $vgpr1_vgpr2
; %bb.11:
	s_andn2_saveexec_b64 s[4:5], s[4:5]
	s_cbranch_execz .LBB0_13
; %bb.12:
	s_add_u32 s6, s16, s6
	s_addc_u32 s7, s17, s7
	s_load_dwordx2 s[6:7], s[6:7], 0x0
	s_mov_b32 s14, 0x1745d18
	v_mul_hi_u32 v5, v0, s14
	s_waitcnt lgkmcnt(0)
	v_mul_lo_u32 v6, s7, v22
	v_mul_lo_u32 v7, s6, v23
	v_mad_u64_u32 v[3:4], s[6:7], s6, v22, 0
	v_mul_u32_u24_e32 v5, 0xb0, v5
	v_sub_u32_e32 v24, v0, v5
	v_add3_u32 v4, v4, v7, v6
	v_lshlrev_b64 v[3:4], 3, v[3:4]
	v_mov_b32_e32 v0, s9
	v_add_co_u32_e32 v3, vcc, s8, v3
	v_addc_co_u32_e32 v4, vcc, v0, v4, vcc
	v_lshlrev_b64 v[0:1], 3, v[1:2]
	v_lshlrev_b32_e32 v18, 3, v24
	v_add_co_u32_e32 v0, vcc, v3, v0
	v_addc_co_u32_e32 v1, vcc, v4, v1, vcc
	v_add_co_u32_e32 v0, vcc, v0, v18
	v_addc_co_u32_e32 v1, vcc, 0, v1, vcc
	s_movk_i32 s6, 0x1000
	v_add_co_u32_e32 v2, vcc, s6, v0
	v_addc_co_u32_e32 v3, vcc, 0, v1, vcc
	global_load_dwordx2 v[4:5], v[0:1], off
	global_load_dwordx2 v[6:7], v[0:1], off offset:1408
	global_load_dwordx2 v[8:9], v[0:1], off offset:2816
	;; [unrolled: 1-line block ×3, first 2 shown]
	v_add_co_u32_e32 v0, vcc, 0x2000, v0
	v_addc_co_u32_e32 v1, vcc, 0, v1, vcc
	global_load_dwordx2 v[12:13], v[2:3], off offset:1536
	global_load_dwordx2 v[14:15], v[2:3], off offset:2944
	;; [unrolled: 1-line block ×3, first 2 shown]
	v_add_u32_e32 v27, 0xb0, v24
	v_add_u32_e32 v29, 0x160, v24
	;; [unrolled: 1-line block ×6, first 2 shown]
	s_waitcnt vmcnt(5)
	ds_write2_b64 v0, v[4:5], v[6:7] offset1:176
	s_waitcnt vmcnt(3)
	ds_write2_b64 v1, v[8:9], v[10:11] offset0:32 offset1:208
	s_waitcnt vmcnt(1)
	ds_write2_b64 v2, v[12:13], v[14:15] offset0:64 offset1:240
	s_waitcnt vmcnt(0)
	ds_write_b64 v0, v[16:17] offset:8448
.LBB0_13:
	s_or_b64 exec, exec, s[4:5]
	v_lshlrev_b32_e32 v25, 3, v24
	v_add_u32_e32 v32, 0, v25
	v_add_u32_e32 v0, 0x1200, v32
	s_load_dwordx2 s[4:5], s[2:3], 0x0
	s_waitcnt lgkmcnt(0)
	s_barrier
	ds_read2_b64 v[1:4], v32 offset1:176
	ds_read2_b64 v[5:8], v0 offset0:40 offset1:216
	v_add_u32_e32 v9, 0xa00, v32
	v_add_u32_e32 v13, 0x1c00, v32
	ds_read2_b64 v[9:12], v9 offset0:32 offset1:208
	ds_read2_b64 v[13:16], v13 offset0:72 offset1:248
	v_add_u32_e32 v17, v32, v25
	s_waitcnt lgkmcnt(2)
	v_sub_f32_e32 v5, v1, v5
	v_sub_f32_e32 v6, v2, v6
	v_fma_f32 v1, v1, 2.0, -v5
	v_fma_f32 v2, v2, 2.0, -v6
	s_waitcnt lgkmcnt(0)
	s_barrier
	ds_write2_b64 v17, v[1:2], v[5:6] offset1:1
	v_sub_f32_e32 v1, v3, v7
	v_sub_f32_e32 v2, v4, v8
	v_fma_f32 v17, v3, 2.0, -v1
	v_fma_f32 v18, v4, 2.0, -v2
	v_sub_f32_e32 v13, v9, v13
	v_sub_f32_e32 v14, v10, v14
	;; [unrolled: 1-line block ×4, first 2 shown]
	v_lshl_add_u32 v16, v27, 4, 0
	s_movk_i32 s2, 0x57
	s_movk_i32 s6, 0x58
	v_fma_f32 v8, v9, 2.0, -v13
	v_fma_f32 v9, v10, 2.0, -v14
	;; [unrolled: 1-line block ×4, first 2 shown]
	ds_write2_b64 v16, v[17:18], v[1:2] offset1:1
	v_lshl_add_u32 v17, v29, 4, 0
	v_cmp_lt_u32_e64 s[2:3], s2, v24
	v_cmp_gt_u32_e32 vcc, s6, v24
	ds_write2_b64 v17, v[8:9], v[13:14] offset1:1
	s_and_saveexec_b64 s[6:7], vcc
	s_cbranch_execz .LBB0_15
; %bb.14:
	v_lshl_add_u32 v1, v26, 4, 0
	ds_write2_b64 v1, v[4:5], v[6:7] offset1:1
.LBB0_15:
	s_or_b64 exec, exec, s[6:7]
	v_lshlrev_b32_e32 v28, 3, v27
	v_lshlrev_b32_e32 v30, 3, v29
	v_sub_u32_e32 v12, v16, v28
	v_sub_u32_e32 v10, v17, v30
	s_waitcnt lgkmcnt(0)
	s_barrier
	ds_read_b64 v[8:9], v32
	ds_read2_b64 v[0:3], v0 offset0:40 offset1:216
	ds_read_b64 v[10:11], v10
	ds_read_b64 v[12:13], v12
	ds_read_b64 v[14:15], v32 offset:7744
	s_and_saveexec_b64 s[6:7], s[2:3]
	s_xor_b64 s[6:7], exec, s[6:7]
	s_or_saveexec_b64 s[6:7], s[6:7]
	v_lshlrev_b32_e32 v18, 1, v27
	v_lshlrev_b32_e32 v19, 1, v29
	v_lshl_add_u32 v33, v26, 3, 0
	s_xor_b64 exec, exec, s[6:7]
	s_cbranch_execz .LBB0_17
; %bb.16:
	ds_read_b64 v[4:5], v33
	ds_read_b64 v[6:7], v32 offset:9152
.LBB0_17:
	s_or_b64 exec, exec, s[6:7]
	v_and_b32_e32 v35, 1, v24
	v_lshlrev_b32_e32 v31, 3, v35
	global_load_dwordx2 v[36:37], v31, s[12:13]
	v_sub_u32_e32 v34, 0, v28
	v_lshlrev_b32_e32 v28, 1, v24
	s_movk_i32 s6, 0x1fc
	v_sub_u32_e32 v31, 0, v30
	s_movk_i32 s7, 0x3fc
	s_movk_i32 s8, 0x7fc
	v_and_or_b32 v30, v28, s6, v35
	v_and_or_b32 v38, v18, s7, v35
	;; [unrolled: 1-line block ×3, first 2 shown]
	v_lshl_add_u32 v30, v30, 3, 0
	s_waitcnt vmcnt(0) lgkmcnt(0)
	s_barrier
	v_lshl_add_u32 v38, v38, 3, 0
	v_lshl_add_u32 v39, v39, 3, 0
	v_mul_f32_e32 v40, v37, v1
	v_mul_f32_e32 v41, v37, v0
	;; [unrolled: 1-line block ×8, first 2 shown]
	v_fma_f32 v0, v36, v0, -v40
	v_fmac_f32_e32 v41, v36, v1
	v_fma_f32 v2, v36, v2, -v42
	v_fmac_f32_e32 v43, v36, v3
	;; [unrolled: 2-line block ×4, first 2 shown]
	v_sub_f32_e32 v0, v8, v0
	v_sub_f32_e32 v1, v9, v41
	;; [unrolled: 1-line block ×8, first 2 shown]
	v_fma_f32 v8, v8, 2.0, -v0
	v_fma_f32 v9, v9, 2.0, -v1
	;; [unrolled: 1-line block ×8, first 2 shown]
	ds_write2_b64 v30, v[8:9], v[0:1] offset1:2
	ds_write2_b64 v38, v[12:13], v[2:3] offset1:2
	;; [unrolled: 1-line block ×3, first 2 shown]
	v_lshlrev_b32_e32 v30, 1, v26
	s_and_saveexec_b64 s[6:7], vcc
	s_cbranch_execz .LBB0_19
; %bb.18:
	s_movk_i32 s8, 0x5fc
	v_and_or_b32 v0, v30, s8, v35
	v_lshl_add_u32 v0, v0, 3, 0
	ds_write2_b64 v0, v[4:5], v[6:7] offset1:2
.LBB0_19:
	s_or_b64 exec, exec, s[6:7]
	v_add_u32_e32 v0, 0x1200, v32
	v_add_u32_e32 v35, v16, v34
	;; [unrolled: 1-line block ×3, first 2 shown]
	s_waitcnt lgkmcnt(0)
	s_barrier
	ds_read_b64 v[8:9], v32
	ds_read2_b64 v[0:3], v0 offset0:40 offset1:216
	ds_read_b64 v[10:11], v34
	ds_read_b64 v[12:13], v35
	ds_read_b64 v[14:15], v32 offset:7744
	s_and_saveexec_b64 s[6:7], s[2:3]
	s_xor_b64 s[6:7], exec, s[6:7]
	s_andn2_saveexec_b64 s[6:7], s[6:7]
	s_cbranch_execz .LBB0_21
; %bb.20:
	ds_read_b64 v[4:5], v33
	ds_read_b64 v[6:7], v32 offset:9152
.LBB0_21:
	s_or_b64 exec, exec, s[6:7]
	v_and_b32_e32 v16, 3, v24
	v_lshlrev_b32_e32 v17, 3, v16
	global_load_dwordx2 v[36:37], v17, s[12:13] offset:16
	s_movk_i32 s6, 0x1f8
	s_movk_i32 s7, 0x3f8
	;; [unrolled: 1-line block ×3, first 2 shown]
	v_and_or_b32 v17, v28, s6, v16
	v_and_or_b32 v31, v18, s7, v16
	;; [unrolled: 1-line block ×3, first 2 shown]
	v_lshl_add_u32 v17, v17, 3, 0
	s_waitcnt vmcnt(0) lgkmcnt(0)
	s_barrier
	v_lshl_add_u32 v31, v31, 3, 0
	v_lshl_add_u32 v38, v38, 3, 0
	v_mul_f32_e32 v39, v37, v1
	v_mul_f32_e32 v40, v37, v0
	v_mul_f32_e32 v41, v37, v3
	v_mul_f32_e32 v42, v37, v2
	v_mul_f32_e32 v43, v37, v15
	v_mul_f32_e32 v44, v37, v14
	v_mul_f32_e32 v45, v7, v37
	v_mul_f32_e32 v37, v6, v37
	v_fma_f32 v0, v36, v0, -v39
	v_fmac_f32_e32 v40, v36, v1
	v_fma_f32 v2, v36, v2, -v41
	v_fmac_f32_e32 v42, v36, v3
	;; [unrolled: 2-line block ×4, first 2 shown]
	v_sub_f32_e32 v0, v8, v0
	v_sub_f32_e32 v1, v9, v40
	;; [unrolled: 1-line block ×8, first 2 shown]
	v_fma_f32 v8, v8, 2.0, -v0
	v_fma_f32 v9, v9, 2.0, -v1
	;; [unrolled: 1-line block ×8, first 2 shown]
	ds_write2_b64 v17, v[8:9], v[0:1] offset1:4
	ds_write2_b64 v31, v[36:37], v[2:3] offset1:4
	;; [unrolled: 1-line block ×3, first 2 shown]
	s_and_saveexec_b64 s[6:7], vcc
	s_cbranch_execz .LBB0_23
; %bb.22:
	s_movk_i32 s8, 0x5f8
	v_and_or_b32 v0, v30, s8, v16
	v_lshl_add_u32 v0, v0, 3, 0
	ds_write2_b64 v0, v[12:13], v[6:7] offset1:4
.LBB0_23:
	s_or_b64 exec, exec, s[6:7]
	v_add_u32_e32 v0, 0x1200, v32
	s_waitcnt lgkmcnt(0)
	s_barrier
	ds_read_b64 v[4:5], v32
	ds_read2_b64 v[0:3], v0 offset0:40 offset1:216
	ds_read_b64 v[16:17], v34
	ds_read_b64 v[8:9], v35
	ds_read_b64 v[10:11], v32 offset:7744
	s_and_saveexec_b64 s[6:7], s[2:3]
	s_xor_b64 s[2:3], exec, s[6:7]
	s_andn2_saveexec_b64 s[2:3], s[2:3]
	s_cbranch_execz .LBB0_25
; %bb.24:
	ds_read_b64 v[12:13], v33
	ds_read_b64 v[6:7], v32 offset:9152
.LBB0_25:
	s_or_b64 exec, exec, s[2:3]
	v_and_b32_e32 v31, 7, v24
	v_lshlrev_b32_e32 v14, 3, v31
	global_load_dwordx2 v[14:15], v14, s[12:13] offset:48
	s_movk_i32 s2, 0x1f0
	s_movk_i32 s3, 0x3f0
	;; [unrolled: 1-line block ×3, first 2 shown]
	v_and_or_b32 v28, v28, s2, v31
	v_and_or_b32 v18, v18, s3, v31
	;; [unrolled: 1-line block ×3, first 2 shown]
	v_lshl_add_u32 v28, v28, 3, 0
	s_waitcnt vmcnt(0) lgkmcnt(0)
	s_barrier
	v_lshl_add_u32 v18, v18, 3, 0
	v_lshl_add_u32 v19, v19, 3, 0
	v_mul_f32_e32 v36, v15, v1
	v_mul_f32_e32 v37, v15, v0
	;; [unrolled: 1-line block ×8, first 2 shown]
	v_fma_f32 v0, v14, v0, -v36
	v_fmac_f32_e32 v37, v14, v1
	v_fma_f32 v1, v14, v2, -v38
	v_fmac_f32_e32 v39, v14, v3
	;; [unrolled: 2-line block ×4, first 2 shown]
	v_sub_f32_e32 v2, v4, v0
	v_sub_f32_e32 v3, v5, v37
	;; [unrolled: 1-line block ×8, first 2 shown]
	v_fma_f32 v0, v4, 2.0, -v2
	v_fma_f32 v1, v5, 2.0, -v3
	;; [unrolled: 1-line block ×8, first 2 shown]
	ds_write2_b64 v28, v[0:1], v[2:3] offset1:8
	ds_write2_b64 v18, v[8:9], v[10:11] offset1:8
	;; [unrolled: 1-line block ×3, first 2 shown]
	s_and_saveexec_b64 s[2:3], vcc
	s_cbranch_execz .LBB0_27
; %bb.26:
	s_movk_i32 s6, 0x5f0
	v_and_or_b32 v16, v30, s6, v31
	v_lshl_add_u32 v16, v16, 3, 0
	ds_write2_b64 v16, v[12:13], v[14:15] offset1:8
.LBB0_27:
	s_or_b64 exec, exec, s[2:3]
	s_movk_i32 s2, 0x70
	v_cmp_gt_u32_e64 s[2:3], s2, v24
	s_waitcnt lgkmcnt(0)
	s_barrier
	s_waitcnt lgkmcnt(0)
                                        ; implicit-def: $vgpr31
                                        ; implicit-def: $vgpr19
	s_and_saveexec_b64 s[6:7], s[2:3]
	s_cbranch_execz .LBB0_29
; %bb.28:
	v_add_u32_e32 v4, 0x400, v32
	ds_read2_b64 v[8:11], v4 offset0:96 offset1:208
	v_add_u32_e32 v4, 0xc00, v32
	v_add_u32_e32 v12, 0x1400, v32
	;; [unrolled: 1-line block ×3, first 2 shown]
	ds_read2_b64 v[0:3], v32 offset1:112
	ds_read2_b64 v[4:7], v4 offset0:64 offset1:176
	ds_read2_b64 v[12:15], v12 offset0:32 offset1:144
	;; [unrolled: 1-line block ×3, first 2 shown]
	ds_read_b64 v[30:31], v32 offset:8960
.LBB0_29:
	s_or_b64 exec, exec, s[6:7]
	s_waitcnt lgkmcnt(0)
	s_barrier
	s_and_saveexec_b64 s[6:7], s[2:3]
	s_cbranch_execz .LBB0_31
; %bb.30:
	v_and_b32_e32 v28, 15, v24
	v_mul_u32_u24_e32 v36, 10, v28
	v_lshlrev_b32_e32 v56, 3, v36
	global_load_dwordx4 v[36:39], v56, s[12:13] offset:112
	global_load_dwordx4 v[40:43], v56, s[12:13] offset:176
	;; [unrolled: 1-line block ×5, first 2 shown]
	s_mov_b32 s2, 0xbf75a155
	s_mov_b32 s3, 0x3f575c64
	;; [unrolled: 1-line block ×5, first 2 shown]
	s_waitcnt vmcnt(4)
	v_mul_f32_e32 v56, v2, v37
	s_waitcnt vmcnt(3)
	v_mul_f32_e32 v58, v30, v43
	v_mul_f32_e32 v37, v3, v37
	;; [unrolled: 1-line block ×6, first 2 shown]
	v_fmac_f32_e32 v56, v3, v36
	v_fmac_f32_e32 v58, v31, v42
	s_waitcnt vmcnt(2)
	v_mul_f32_e32 v60, v10, v45
	v_mul_f32_e32 v45, v11, v45
	s_waitcnt vmcnt(1)
	v_mul_f32_e32 v61, v16, v51
	v_mul_f32_e32 v62, v14, v49
	;; [unrolled: 1-line block ×4, first 2 shown]
	s_waitcnt vmcnt(0)
	v_mul_f32_e32 v65, v6, v53
	v_mul_f32_e32 v53, v7, v53
	v_fma_f32 v36, v2, v36, -v37
	v_fmac_f32_e32 v57, v9, v38
	v_fma_f32 v37, v8, v38, -v39
	v_fma_f32 v30, v30, v42, -v43
	v_fmac_f32_e32 v59, v19, v40
	v_add_f32_e32 v38, v56, v58
	v_sub_f32_e32 v43, v56, v58
	v_mul_f32_e32 v41, v19, v41
	v_mul_f32_e32 v51, v17, v51
	;; [unrolled: 1-line block ×5, first 2 shown]
	v_fmac_f32_e32 v60, v11, v44
	v_fma_f32 v19, v10, v44, -v45
	v_fmac_f32_e32 v61, v17, v50
	v_fma_f32 v17, v4, v46, -v47
	;; [unrolled: 2-line block ×3, first 2 shown]
	v_add_f32_e32 v39, v57, v59
	v_sub_f32_e32 v45, v57, v59
	v_mul_f32_e32 v4, 0xbf75a155, v38
	v_mul_f32_e32 v6, 0xbe903f40, v43
	v_fma_f32 v18, v18, v40, -v41
	v_fmac_f32_e32 v63, v5, v46
	v_fmac_f32_e32 v65, v7, v52
	v_fma_f32 v31, v12, v54, -v55
	v_sub_f32_e32 v12, v36, v30
	v_add_f32_e32 v40, v60, v61
	v_add_f32_e32 v42, v36, v30
	v_sub_f32_e32 v47, v60, v61
	v_mul_f32_e32 v5, 0x3f575c64, v39
	v_mul_f32_e32 v7, 0x3f0a6770, v45
	v_mov_b32_e32 v2, v4
	v_mov_b32_e32 v52, v6
	v_fma_f32 v16, v16, v50, -v51
	v_fmac_f32_e32 v64, v13, v54
	v_sub_f32_e32 v13, v37, v18
	v_add_f32_e32 v44, v37, v18
	v_sub_f32_e32 v51, v63, v62
	v_mul_f32_e32 v8, 0xbf27a4f4, v40
	v_mul_f32_e32 v9, 0xbf4178ce, v47
	v_mov_b32_e32 v3, v5
	v_mov_b32_e32 v53, v7
	v_fmac_f32_e32 v2, 0x3e903f40, v12
	v_fmac_f32_e32 v52, 0xbf75a155, v42
	v_fma_f32 v14, v14, v48, -v49
	v_sub_f32_e32 v41, v19, v16
	v_add_f32_e32 v46, v19, v16
	v_add_f32_e32 v48, v63, v62
	v_mul_f32_e32 v11, 0x3f68dda4, v51
	v_mov_b32_e32 v54, v8
	v_mov_b32_e32 v55, v9
	v_fmac_f32_e32 v3, 0xbf0a6770, v13
	v_fmac_f32_e32 v53, 0x3f575c64, v44
	v_add_f32_e32 v2, v1, v2
	v_add_f32_e32 v52, v0, v52
	;; [unrolled: 1-line block ×3, first 2 shown]
	v_mul_f32_e32 v10, 0x3ed4b147, v48
	v_fmac_f32_e32 v54, 0x3f4178ce, v41
	v_fmac_f32_e32 v55, 0xbf27a4f4, v46
	v_add_f32_e32 v2, v3, v2
	v_add_f32_e32 v3, v53, v52
	v_mov_b32_e32 v52, v11
	v_add_f32_e32 v53, v65, v64
	v_fmac_f32_e32 v4, 0xbe903f40, v12
	v_sub_f32_e32 v49, v17, v14
	v_mov_b32_e32 v66, v10
	v_add_f32_e32 v2, v54, v2
	v_add_f32_e32 v3, v55, v3
	v_fmac_f32_e32 v52, 0x3ed4b147, v50
	v_mul_f32_e32 v54, 0xbe11bafb, v53
	v_add_f32_e32 v4, v1, v4
	v_fmac_f32_e32 v5, 0x3f0a6770, v13
	v_fmac_f32_e32 v66, 0xbf68dda4, v49
	v_add_f32_e32 v52, v52, v3
	v_sub_f32_e32 v55, v15, v31
	v_mov_b32_e32 v3, v54
	v_sub_f32_e32 v67, v65, v64
	v_add_f32_e32 v4, v5, v4
	v_fma_f32 v5, v42, s2, -v6
	v_add_f32_e32 v2, v66, v2
	v_fmac_f32_e32 v3, 0x3f7d64f0, v55
	v_mul_f32_e32 v68, 0xbf7d64f0, v67
	v_fmac_f32_e32 v8, 0xbf4178ce, v41
	v_add_f32_e32 v5, v0, v5
	v_fma_f32 v6, v44, s3, -v7
	v_add_f32_e32 v3, v3, v2
	v_add_f32_e32 v66, v15, v31
	v_mov_b32_e32 v2, v68
	v_add_f32_e32 v4, v8, v4
	v_fmac_f32_e32 v10, 0x3f68dda4, v49
	v_add_f32_e32 v5, v6, v5
	v_fma_f32 v6, v46, s8, -v9
	v_fmac_f32_e32 v2, 0xbe11bafb, v66
	v_add_f32_e32 v4, v10, v4
	v_add_f32_e32 v5, v6, v5
	v_fma_f32 v6, v50, s9, -v11
	v_fmac_f32_e32 v54, 0xbf7d64f0, v55
	v_add_f32_e32 v2, v2, v52
	v_add_f32_e32 v6, v6, v5
	;; [unrolled: 1-line block ×3, first 2 shown]
	v_fma_f32 v4, v66, s14, -v68
	v_mul_f32_e32 v52, 0xbf4178ce, v12
	v_add_f32_e32 v4, v4, v6
	v_mov_b32_e32 v6, v52
	v_mul_f32_e32 v54, 0x3f7d64f0, v13
	v_fmac_f32_e32 v6, 0xbf27a4f4, v38
	v_mov_b32_e32 v7, v54
	v_add_f32_e32 v6, v1, v6
	v_fmac_f32_e32 v7, 0xbe11bafb, v39
	v_mul_f32_e32 v68, 0xbf0a6770, v41
	v_add_f32_e32 v6, v7, v6
	v_mov_b32_e32 v7, v68
	v_fmac_f32_e32 v7, 0x3f575c64, v40
	v_mul_f32_e32 v69, 0xbe903f40, v49
	v_add_f32_e32 v6, v7, v6
	v_mov_b32_e32 v7, v69
	v_fmac_f32_e32 v7, 0xbf75a155, v48
	v_mul_f32_e32 v70, 0xbf4178ce, v43
	v_add_f32_e32 v6, v7, v6
	v_fma_f32 v7, v42, s8, -v70
	v_mul_f32_e32 v71, 0x3f7d64f0, v45
	v_add_f32_e32 v7, v0, v7
	v_fma_f32 v8, v44, s14, -v71
	;; [unrolled: 3-line block ×4, first 2 shown]
	v_mul_f32_e32 v74, 0x3f68dda4, v55
	v_add_f32_e32 v8, v8, v7
	v_mov_b32_e32 v7, v74
	v_fmac_f32_e32 v7, 0x3ed4b147, v53
	v_mul_f32_e32 v75, 0x3f68dda4, v67
	v_add_f32_e32 v7, v7, v6
	v_fma_f32 v6, v66, s9, -v75
	v_mul_f32_e32 v76, 0xbf7d64f0, v12
	v_add_f32_e32 v6, v6, v8
	v_mov_b32_e32 v8, v76
	v_mul_f32_e32 v77, 0x3e903f40, v13
	v_fmac_f32_e32 v8, 0xbe11bafb, v38
	v_mov_b32_e32 v9, v77
	v_add_f32_e32 v8, v1, v8
	v_fmac_f32_e32 v9, 0xbf75a155, v39
	v_mul_f32_e32 v78, 0x3f68dda4, v41
	v_add_f32_e32 v8, v9, v8
	v_mov_b32_e32 v9, v78
	v_fmac_f32_e32 v9, 0x3ed4b147, v40
	v_mul_f32_e32 v79, 0xbf0a6770, v49
	v_add_f32_e32 v8, v9, v8
	v_mov_b32_e32 v9, v79
	v_fmac_f32_e32 v9, 0x3f575c64, v48
	v_mul_f32_e32 v80, 0xbf7d64f0, v43
	v_add_f32_e32 v36, v0, v36
	v_add_f32_e32 v8, v9, v8
	v_fma_f32 v9, v42, s14, -v80
	v_mul_f32_e32 v81, 0x3e903f40, v45
	v_add_f32_e32 v36, v36, v37
	v_add_f32_e32 v9, v0, v9
	v_fma_f32 v10, v44, s2, -v81
	;; [unrolled: 4-line block ×4, first 2 shown]
	v_mul_f32_e32 v84, 0xbf4178ce, v55
	v_add_f32_e32 v15, v17, v15
	v_add_f32_e32 v10, v10, v9
	v_mov_b32_e32 v9, v84
	v_add_f32_e32 v15, v15, v31
	v_fmac_f32_e32 v9, 0xbf27a4f4, v53
	v_mul_f32_e32 v85, 0xbf4178ce, v67
	v_add_f32_e32 v14, v15, v14
	v_add_f32_e32 v9, v9, v8
	v_fma_f32 v8, v66, s8, -v85
	v_mul_f32_e32 v86, 0xbf68dda4, v12
	v_add_f32_e32 v14, v14, v16
	v_fma_f32 v16, v38, s8, -v52
	v_add_f32_e32 v8, v8, v10
	v_mov_b32_e32 v10, v86
	v_mul_f32_e32 v87, 0xbf4178ce, v13
	v_add_f32_e32 v16, v1, v16
	v_fma_f32 v17, v39, s14, -v54
	v_fmac_f32_e32 v10, 0x3ed4b147, v38
	v_mov_b32_e32 v11, v87
	v_add_f32_e32 v16, v17, v16
	v_fma_f32 v17, v40, s3, -v68
	v_add_f32_e32 v10, v1, v10
	v_fmac_f32_e32 v11, 0xbf27a4f4, v39
	v_mul_f32_e32 v88, 0x3e903f40, v41
	v_add_f32_e32 v16, v17, v16
	v_fma_f32 v17, v48, s2, -v69
	v_fmac_f32_e32 v70, 0xbf27a4f4, v42
	v_add_f32_e32 v10, v11, v10
	v_mov_b32_e32 v11, v88
	v_add_f32_e32 v16, v17, v16
	v_add_f32_e32 v17, v0, v70
	v_fmac_f32_e32 v71, 0xbe11bafb, v44
	v_fmac_f32_e32 v11, 0xbf75a155, v40
	v_mul_f32_e32 v89, 0x3f7d64f0, v49
	v_add_f32_e32 v17, v71, v17
	v_fmac_f32_e32 v72, 0x3f575c64, v46
	v_add_f32_e32 v10, v11, v10
	v_mov_b32_e32 v11, v89
	v_add_f32_e32 v17, v72, v17
	v_fmac_f32_e32 v73, 0xbf75a155, v50
	v_fmac_f32_e32 v11, 0xbe11bafb, v48
	v_mul_f32_e32 v90, 0xbf68dda4, v43
	v_add_f32_e32 v14, v14, v18
	v_add_f32_e32 v18, v73, v17
	v_fma_f32 v17, v53, s9, -v74
	v_fmac_f32_e32 v75, 0x3ed4b147, v66
	v_add_f32_e32 v10, v11, v10
	v_fma_f32 v11, v42, s9, -v90
	v_mul_f32_e32 v91, 0xbf4178ce, v45
	v_add_f32_e32 v17, v17, v16
	v_add_f32_e32 v16, v75, v18
	v_fma_f32 v18, v38, s14, -v76
	v_add_f32_e32 v11, v0, v11
	v_fma_f32 v92, v44, s8, -v91
	;; [unrolled: 2-line block ×3, first 2 shown]
	v_add_f32_e32 v11, v92, v11
	v_mul_f32_e32 v92, 0x3e903f40, v47
	v_add_f32_e32 v18, v19, v18
	v_fma_f32 v19, v40, s9, -v78
	v_fma_f32 v93, v46, s2, -v92
	v_add_f32_e32 v18, v19, v18
	v_fma_f32 v19, v48, s3, -v79
	v_fmac_f32_e32 v80, 0xbe11bafb, v42
	v_add_f32_e32 v11, v93, v11
	v_mul_f32_e32 v93, 0x3f7d64f0, v51
	v_add_f32_e32 v18, v19, v18
	v_add_f32_e32 v19, v0, v80
	v_fmac_f32_e32 v81, 0xbf75a155, v44
	v_fma_f32 v94, v50, s14, -v93
	v_mul_f32_e32 v95, 0x3f0a6770, v55
	v_add_f32_e32 v19, v81, v19
	v_fmac_f32_e32 v82, 0x3ed4b147, v46
	v_add_f32_e32 v94, v94, v11
	v_mov_b32_e32 v11, v95
	v_add_f32_e32 v19, v82, v19
	v_fmac_f32_e32 v83, 0x3f575c64, v50
	v_fmac_f32_e32 v11, 0x3f575c64, v53
	v_mul_f32_e32 v96, 0x3f0a6770, v67
	v_add_f32_e32 v14, v14, v30
	v_add_f32_e32 v30, v83, v19
	v_fma_f32 v19, v53, s8, -v84
	v_fmac_f32_e32 v85, 0xbf27a4f4, v66
	v_add_f32_e32 v11, v11, v10
	v_fma_f32 v10, v66, s3, -v96
	v_add_f32_e32 v19, v19, v18
	v_add_f32_e32 v18, v85, v30
	v_fma_f32 v30, v38, s9, -v86
	v_add_f32_e32 v10, v10, v94
	v_mul_f32_e32 v94, 0xbf0a6770, v12
	v_add_f32_e32 v30, v1, v30
	v_fma_f32 v31, v39, s8, -v87
	v_mov_b32_e32 v12, v94
	v_mul_f32_e32 v97, 0xbf68dda4, v13
	v_add_f32_e32 v30, v31, v30
	v_fma_f32 v31, v40, s2, -v88
	v_fmac_f32_e32 v12, 0x3f575c64, v38
	v_mov_b32_e32 v13, v97
	v_add_f32_e32 v30, v31, v30
	v_fma_f32 v31, v48, s14, -v89
	v_fmac_f32_e32 v90, 0x3ed4b147, v42
	v_add_f32_e32 v12, v1, v12
	v_fmac_f32_e32 v13, 0x3ed4b147, v39
	v_mul_f32_e32 v41, 0xbf7d64f0, v41
	v_add_f32_e32 v30, v31, v30
	v_add_f32_e32 v31, v0, v90
	v_fmac_f32_e32 v91, 0xbf27a4f4, v44
	v_add_f32_e32 v12, v13, v12
	v_mov_b32_e32 v13, v41
	v_add_f32_e32 v31, v91, v31
	v_fmac_f32_e32 v92, 0xbf75a155, v46
	v_fmac_f32_e32 v13, 0xbe11bafb, v40
	v_mul_f32_e32 v49, 0xbf4178ce, v49
	v_add_f32_e32 v31, v92, v31
	v_fmac_f32_e32 v93, 0xbe11bafb, v50
	v_add_f32_e32 v12, v13, v12
	v_mov_b32_e32 v13, v49
	v_add_f32_e32 v56, v1, v56
	v_add_f32_e32 v36, v93, v31
	v_fma_f32 v31, v53, s3, -v95
	v_fmac_f32_e32 v96, 0x3f575c64, v66
	v_fmac_f32_e32 v13, 0xbf27a4f4, v48
	v_mul_f32_e32 v43, 0xbf0a6770, v43
	v_add_f32_e32 v56, v56, v57
	v_add_f32_e32 v31, v31, v30
	;; [unrolled: 1-line block ×3, first 2 shown]
	v_fma_f32 v36, v38, s3, -v94
	v_add_f32_e32 v12, v13, v12
	v_fma_f32 v13, v42, s3, -v43
	v_mul_f32_e32 v45, 0xbf68dda4, v45
	v_add_f32_e32 v56, v56, v60
	v_fma_f32 v37, v39, s9, -v97
	v_add_f32_e32 v1, v1, v36
	v_add_f32_e32 v13, v0, v13
	v_fma_f32 v98, v44, s9, -v45
	v_mul_f32_e32 v47, 0xbf7d64f0, v47
	v_add_f32_e32 v56, v56, v63
	v_add_f32_e32 v1, v37, v1
	v_fma_f32 v36, v40, s14, -v41
	v_add_f32_e32 v13, v98, v13
	v_fma_f32 v98, v46, s14, -v47
	v_mul_f32_e32 v51, 0xbf4178ce, v51
	v_mul_f32_e32 v55, 0xbe903f40, v55
	v_add_f32_e32 v56, v56, v65
	v_add_f32_e32 v1, v36, v1
	v_fma_f32 v36, v48, s8, -v49
	v_add_f32_e32 v13, v98, v13
	v_fma_f32 v98, v50, s8, -v51
	v_add_f32_e32 v56, v56, v64
	v_add_f32_e32 v1, v36, v1
	v_fma_f32 v36, v53, s2, -v55
	v_fmac_f32_e32 v43, 0x3f575c64, v42
	v_add_f32_e32 v98, v98, v13
	v_mov_b32_e32 v13, v55
	v_add_f32_e32 v56, v56, v62
	v_add_f32_e32 v1, v36, v1
	;; [unrolled: 1-line block ×3, first 2 shown]
	v_fmac_f32_e32 v45, 0x3ed4b147, v44
	v_lshrrev_b32_e32 v36, 4, v24
	v_fmac_f32_e32 v13, 0xbf75a155, v53
	v_mul_f32_e32 v67, 0xbe903f40, v67
	v_add_f32_e32 v56, v56, v61
	v_add_f32_e32 v0, v45, v0
	v_fmac_f32_e32 v47, 0xbe11bafb, v46
	v_mul_u32_u24_e32 v36, 0xb0, v36
	v_add_f32_e32 v13, v13, v12
	v_fma_f32 v12, v66, s2, -v67
	v_add_f32_e32 v56, v56, v59
	v_add_f32_e32 v0, v47, v0
	v_fmac_f32_e32 v51, 0xbf27a4f4, v50
	v_or_b32_e32 v28, v36, v28
	v_add_f32_e32 v12, v12, v98
	v_add_f32_e32 v15, v56, v58
	v_add_f32_e32 v0, v51, v0
	v_fmac_f32_e32 v67, 0xbf75a155, v66
	v_lshl_add_u32 v28, v28, 3, 0
	v_add_f32_e32 v0, v67, v0
	ds_write2_b64 v28, v[14:15], v[12:13] offset1:16
	ds_write2_b64 v28, v[10:11], v[8:9] offset0:32 offset1:48
	ds_write2_b64 v28, v[6:7], v[4:5] offset0:64 offset1:80
	;; [unrolled: 1-line block ×4, first 2 shown]
	ds_write_b64 v28, v[0:1] offset:1280
.LBB0_31:
	s_or_b64 exec, exec, s[6:7]
	v_mul_u32_u24_e32 v0, 6, v24
	v_lshlrev_b32_e32 v12, 3, v0
	s_waitcnt lgkmcnt(0)
	s_barrier
	global_load_dwordx4 v[0:3], v12, s[12:13] offset:1392
	global_load_dwordx4 v[4:7], v12, s[12:13] offset:1408
	;; [unrolled: 1-line block ×3, first 2 shown]
	v_add_u32_e32 v16, 0x1a00, v32
	ds_read2st64_b64 v[12:15], v32 offset1:11
	ds_read_b64 v[30:31], v35
	ds_read_b64 v[36:37], v34
	;; [unrolled: 1-line block ×3, first 2 shown]
	ds_read2_b64 v[16:19], v16 offset0:48 offset1:224
	s_mov_b32 s3, 0x3f3bfb3b
	s_mov_b32 s6, 0xbf3bfb3b
	;; [unrolled: 1-line block ×3, first 2 shown]
	s_waitcnt vmcnt(0) lgkmcnt(0)
	s_barrier
	s_add_u32 s8, s12, 0x2670
	s_addc_u32 s9, s13, 0
	v_mul_f32_e32 v28, v1, v31
	v_mul_f32_e32 v1, v1, v30
	;; [unrolled: 1-line block ×12, first 2 shown]
	v_fma_f32 v28, v0, v30, -v28
	v_fmac_f32_e32 v1, v0, v31
	v_fma_f32 v0, v2, v36, -v40
	v_fmac_f32_e32 v3, v2, v37
	;; [unrolled: 2-line block ×6, first 2 shown]
	v_add_f32_e32 v10, v28, v8
	v_add_f32_e32 v14, v1, v11
	v_sub_f32_e32 v1, v1, v11
	v_add_f32_e32 v11, v0, v6
	v_add_f32_e32 v15, v3, v9
	v_sub_f32_e32 v0, v0, v6
	v_sub_f32_e32 v3, v3, v9
	v_add_f32_e32 v6, v2, v4
	v_add_f32_e32 v9, v5, v7
	v_sub_f32_e32 v2, v4, v2
	;; [unrolled: 4-line block ×3, first 2 shown]
	v_sub_f32_e32 v16, v11, v10
	v_sub_f32_e32 v17, v15, v14
	;; [unrolled: 1-line block ×6, first 2 shown]
	v_add_f32_e32 v18, v2, v0
	v_add_f32_e32 v19, v4, v3
	;; [unrolled: 1-line block ×4, first 2 shown]
	v_sub_f32_e32 v28, v2, v0
	v_sub_f32_e32 v30, v4, v3
	;; [unrolled: 1-line block ×6, first 2 shown]
	v_add_f32_e32 v7, v18, v8
	v_add_f32_e32 v8, v19, v1
	v_mul_f32_e32 v9, 0x3f4a47b2, v10
	v_mul_f32_e32 v10, 0x3f4a47b2, v14
	v_mul_f32_e32 v14, 0x3d64c772, v11
	v_mul_f32_e32 v18, 0x3d64c772, v15
	v_add_f32_e32 v0, v5, v12
	v_add_f32_e32 v1, v6, v13
	v_mul_f32_e32 v19, 0xbf08b237, v28
	v_mul_f32_e32 v28, 0xbf08b237, v30
	v_fma_f32 v12, v16, s3, -v14
	v_fma_f32 v13, v17, s3, -v18
	;; [unrolled: 1-line block ×3, first 2 shown]
	v_mov_b32_e32 v16, v0
	v_mov_b32_e32 v18, v1
	v_mul_f32_e32 v30, 0x3f5ff5aa, v31
	v_mul_f32_e32 v36, 0x3f5ff5aa, v3
	v_fmac_f32_e32 v16, 0xbf955555, v5
	v_fmac_f32_e32 v18, 0xbf955555, v6
	;; [unrolled: 1-line block ×3, first 2 shown]
	v_fma_f32 v5, v17, s6, -v10
	v_fmac_f32_e32 v10, 0x3d64c772, v15
	v_fma_f32 v11, v31, s2, -v19
	v_fmac_f32_e32 v19, 0x3eae86e6, v2
	;; [unrolled: 2-line block ×3, first 2 shown]
	s_mov_b32 s2, 0xbeae86e6
	v_fma_f32 v17, v2, s2, -v30
	v_fma_f32 v30, v4, s2, -v36
	v_add_f32_e32 v31, v9, v16
	v_add_f32_e32 v36, v10, v18
	v_fmac_f32_e32 v19, 0x3ee1c552, v7
	v_fmac_f32_e32 v28, 0x3ee1c552, v8
	v_add_f32_e32 v9, v12, v16
	v_add_f32_e32 v10, v13, v18
	;; [unrolled: 1-line block ×4, first 2 shown]
	v_fmac_f32_e32 v11, 0x3ee1c552, v7
	v_fmac_f32_e32 v15, 0x3ee1c552, v8
	;; [unrolled: 1-line block ×4, first 2 shown]
	v_add_f32_e32 v2, v28, v31
	v_sub_f32_e32 v3, v36, v19
	v_add_f32_e32 v4, v30, v12
	v_sub_f32_e32 v5, v13, v17
	v_sub_f32_e32 v6, v9, v15
	v_add_f32_e32 v7, v11, v10
	ds_write2_b64 v32, v[0:1], v[2:3] offset1:176
	v_add_u32_e32 v0, 0xa00, v32
	v_add_f32_e32 v8, v15, v9
	v_sub_f32_e32 v9, v10, v11
	v_sub_f32_e32 v10, v12, v30
	v_add_f32_e32 v11, v17, v13
	ds_write2_b64 v0, v[4:5], v[6:7] offset0:32 offset1:208
	v_add_u32_e32 v0, 0x1400, v32
	v_sub_f32_e32 v12, v31, v28
	v_add_f32_e32 v13, v19, v36
	ds_write2_b64 v0, v[8:9], v[10:11] offset0:64 offset1:240
	ds_write_b64 v32, v[12:13] offset:8448
	s_waitcnt lgkmcnt(0)
	s_barrier
	ds_read_b64 v[0:1], v32
	v_sub_u32_e32 v2, 0, v25
	v_cmp_ne_u32_e64 s[2:3], 0, v24
                                        ; implicit-def: $vgpr4
                                        ; implicit-def: $vgpr3
	s_and_saveexec_b64 s[6:7], s[2:3]
	s_xor_b64 s[6:7], exec, s[6:7]
	s_cbranch_execz .LBB0_33
; %bb.32:
	v_mov_b32_e32 v25, 0
	v_lshlrev_b64 v[3:4], 3, v[24:25]
	v_mov_b32_e32 v5, s9
	v_add_co_u32_e64 v3, s[2:3], s8, v3
	v_addc_co_u32_e64 v4, s[2:3], v5, v4, s[2:3]
	global_load_dwordx2 v[4:5], v[3:4], off
	ds_read_b64 v[6:7], v2 offset:9856
	s_waitcnt lgkmcnt(0)
	v_add_f32_e32 v8, v6, v0
	v_add_f32_e32 v3, v7, v1
	v_sub_f32_e32 v0, v0, v6
	v_sub_f32_e32 v1, v1, v7
	v_mul_f32_e32 v6, 0.5, v3
	v_mul_f32_e32 v0, 0.5, v0
	;; [unrolled: 1-line block ×3, first 2 shown]
	s_waitcnt vmcnt(0)
	v_mul_f32_e32 v7, v5, v0
	v_fma_f32 v9, v6, v5, v1
	v_fma_f32 v1, v6, v5, -v1
	v_fma_f32 v3, 0.5, v8, v7
	v_fma_f32 v5, -v4, v0, v9
	v_fma_f32 v7, v8, 0.5, -v7
	v_fma_f32 v0, -v4, v0, v1
	v_fmac_f32_e32 v3, v4, v6
	ds_write_b32 v32, v5 offset:4
	v_fma_f32 v4, -v4, v6, v7
	ds_write_b32 v2, v0 offset:9860
                                        ; implicit-def: $vgpr0_vgpr1
.LBB0_33:
	s_andn2_saveexec_b64 s[2:3], s[6:7]
	s_cbranch_execz .LBB0_35
; %bb.34:
	v_mov_b32_e32 v5, 0
	ds_write_b32 v32, v5 offset:4
	ds_write_b32 v2, v5 offset:9860
	ds_read_b32 v6, v5 offset:4932
	s_waitcnt lgkmcnt(3)
	v_add_f32_e32 v3, v0, v1
	v_sub_f32_e32 v4, v0, v1
	s_waitcnt lgkmcnt(0)
	v_xor_b32_e32 v0, 0x80000000, v6
	ds_write_b32 v5, v0 offset:4932
.LBB0_35:
	s_or_b64 exec, exec, s[2:3]
	v_mov_b32_e32 v28, 0
	s_waitcnt lgkmcnt(0)
	v_lshlrev_b64 v[0:1], 3, v[27:28]
	v_mov_b32_e32 v5, s9
	v_add_co_u32_e64 v0, s[2:3], s8, v0
	v_addc_co_u32_e64 v1, s[2:3], v5, v1, s[2:3]
	global_load_dwordx2 v[0:1], v[0:1], off
	v_mov_b32_e32 v30, v28
	v_lshlrev_b64 v[5:6], 3, v[29:30]
	v_mov_b32_e32 v7, s9
	v_add_co_u32_e64 v5, s[2:3], s8, v5
	v_addc_co_u32_e64 v6, s[2:3], v7, v6, s[2:3]
	global_load_dwordx2 v[5:6], v[5:6], off
	ds_write_b32 v32, v3
	ds_write_b32 v2, v4 offset:9856
	ds_read_b64 v[3:4], v35
	ds_read_b64 v[7:8], v2 offset:8448
	s_waitcnt lgkmcnt(0)
	v_add_f32_e32 v9, v3, v7
	v_sub_f32_e32 v3, v3, v7
	v_add_f32_e32 v10, v4, v8
	v_sub_f32_e32 v4, v4, v8
	v_mul_f32_e32 v8, 0.5, v3
	v_mul_f32_e32 v7, 0.5, v10
	;; [unrolled: 1-line block ×3, first 2 shown]
	s_waitcnt vmcnt(1)
	v_mul_f32_e32 v10, v1, v8
	v_fma_f32 v4, v7, v1, v3
	v_fma_f32 v1, v7, v1, -v3
	v_fma_f32 v3, 0.5, v9, v10
	v_fma_f32 v4, -v0, v8, v4
	v_fma_f32 v9, v9, 0.5, -v10
	v_fmac_f32_e32 v3, v0, v7
	v_fma_f32 v1, -v0, v8, v1
	v_fma_f32 v0, -v0, v7, v9
	ds_write_b64 v35, v[3:4]
	ds_write_b64 v2, v[0:1] offset:8448
	ds_read_b64 v[0:1], v34
	ds_read_b64 v[3:4], v2 offset:7040
	s_waitcnt lgkmcnt(0)
	v_add_f32_e32 v7, v0, v3
	v_sub_f32_e32 v0, v0, v3
	v_add_f32_e32 v8, v1, v4
	v_sub_f32_e32 v1, v1, v4
	v_mul_f32_e32 v4, 0.5, v0
	v_mul_f32_e32 v3, 0.5, v8
	v_mul_f32_e32 v0, 0.5, v1
	s_waitcnt vmcnt(0)
	v_mul_f32_e32 v8, v6, v4
	v_fma_f32 v1, v3, v6, v0
	v_fma_f32 v6, v3, v6, -v0
	v_fma_f32 v0, 0.5, v7, v8
	v_fma_f32 v1, -v5, v4, v1
	v_fma_f32 v7, v7, 0.5, -v8
	v_fmac_f32_e32 v0, v5, v3
	v_fma_f32 v4, -v5, v4, v6
	v_fma_f32 v3, -v5, v3, v7
	ds_write_b64 v34, v[0:1]
	ds_write_b64 v2, v[3:4] offset:7040
	s_and_saveexec_b64 s[2:3], vcc
	s_cbranch_execz .LBB0_37
; %bb.36:
	v_mov_b32_e32 v27, v28
	v_lshlrev_b64 v[0:1], 3, v[26:27]
	v_mov_b32_e32 v3, s9
	v_add_co_u32_e32 v0, vcc, s8, v0
	v_addc_co_u32_e32 v1, vcc, v3, v1, vcc
	global_load_dwordx2 v[0:1], v[0:1], off
	ds_read_b64 v[3:4], v33
	ds_read_b64 v[5:6], v2 offset:5632
	s_waitcnt lgkmcnt(0)
	v_add_f32_e32 v7, v3, v5
	v_sub_f32_e32 v3, v3, v5
	v_add_f32_e32 v8, v4, v6
	v_sub_f32_e32 v4, v4, v6
	v_mul_f32_e32 v6, 0.5, v3
	v_mul_f32_e32 v5, 0.5, v8
	;; [unrolled: 1-line block ×3, first 2 shown]
	s_waitcnt vmcnt(0)
	v_mul_f32_e32 v8, v1, v6
	v_fma_f32 v4, v5, v1, v3
	v_fma_f32 v1, v5, v1, -v3
	v_fma_f32 v3, 0.5, v7, v8
	v_fma_f32 v4, -v0, v6, v4
	v_fma_f32 v7, v7, 0.5, -v8
	v_fmac_f32_e32 v3, v0, v5
	v_fma_f32 v1, -v0, v6, v1
	v_fma_f32 v0, -v0, v5, v7
	ds_write_b64 v33, v[3:4]
	ds_write_b64 v2, v[0:1] offset:5632
.LBB0_37:
	s_or_b64 exec, exec, s[2:3]
	s_waitcnt lgkmcnt(0)
	s_barrier
	s_and_saveexec_b64 s[2:3], s[0:1]
	s_cbranch_execz .LBB0_40
; %bb.38:
	v_mul_lo_u32 v2, s5, v22
	v_mul_lo_u32 v3, s4, v23
	v_mad_u64_u32 v[0:1], s[0:1], s4, v22, 0
	v_mov_b32_e32 v6, s11
	v_lshl_add_u32 v8, v24, 3, 0
	v_add3_u32 v1, v1, v3, v2
	v_lshlrev_b64 v[0:1], 3, v[0:1]
	v_mov_b32_e32 v25, 0
	v_add_co_u32_e32 v0, vcc, s10, v0
	v_addc_co_u32_e32 v9, vcc, v6, v1, vcc
	v_lshlrev_b64 v[6:7], 3, v[20:21]
	ds_read2_b64 v[2:5], v8 offset1:176
	v_add_co_u32_e32 v1, vcc, v0, v6
	v_addc_co_u32_e32 v0, vcc, v9, v7, vcc
	v_lshlrev_b64 v[6:7], 3, v[24:25]
	s_movk_i32 s0, 0xaf
	v_add_co_u32_e32 v6, vcc, v1, v6
	v_addc_co_u32_e32 v7, vcc, v0, v7, vcc
	s_waitcnt lgkmcnt(0)
	global_store_dwordx2 v[6:7], v[2:3], off
	v_add_u32_e32 v2, 0xb0, v24
	v_mov_b32_e32 v3, v25
	v_lshlrev_b64 v[2:3], 3, v[2:3]
	v_add_u32_e32 v6, 0x160, v24
	v_add_co_u32_e32 v2, vcc, v1, v2
	v_addc_co_u32_e32 v3, vcc, v0, v3, vcc
	global_store_dwordx2 v[2:3], v[4:5], off
	v_add_u32_e32 v2, 0xa00, v8
	v_mov_b32_e32 v7, v25
	ds_read2_b64 v[2:5], v2 offset0:32 offset1:208
	v_lshlrev_b64 v[6:7], 3, v[6:7]
	v_add_co_u32_e32 v6, vcc, v1, v6
	v_addc_co_u32_e32 v7, vcc, v0, v7, vcc
	s_waitcnt lgkmcnt(0)
	global_store_dwordx2 v[6:7], v[2:3], off
	v_add_u32_e32 v2, 0x210, v24
	v_mov_b32_e32 v3, v25
	v_lshlrev_b64 v[2:3], 3, v[2:3]
	v_add_u32_e32 v6, 0x2c0, v24
	v_add_co_u32_e32 v2, vcc, v1, v2
	v_addc_co_u32_e32 v3, vcc, v0, v3, vcc
	global_store_dwordx2 v[2:3], v[4:5], off
	v_add_u32_e32 v2, 0x1400, v8
	v_mov_b32_e32 v7, v25
	ds_read2_b64 v[2:5], v2 offset0:64 offset1:240
	v_lshlrev_b64 v[6:7], 3, v[6:7]
	v_add_co_u32_e32 v6, vcc, v1, v6
	v_addc_co_u32_e32 v7, vcc, v0, v7, vcc
	s_waitcnt lgkmcnt(0)
	global_store_dwordx2 v[6:7], v[2:3], off
	v_add_u32_e32 v2, 0x370, v24
	v_mov_b32_e32 v3, v25
	v_lshlrev_b64 v[2:3], 3, v[2:3]
	v_add_co_u32_e32 v2, vcc, v1, v2
	v_addc_co_u32_e32 v3, vcc, v0, v3, vcc
	global_store_dwordx2 v[2:3], v[4:5], off
	v_add_u32_e32 v2, 0x420, v24
	v_mov_b32_e32 v3, v25
	ds_read_b64 v[4:5], v8 offset:8448
	v_lshlrev_b64 v[2:3], 3, v[2:3]
	v_add_co_u32_e32 v2, vcc, v1, v2
	v_addc_co_u32_e32 v3, vcc, v0, v3, vcc
	v_cmp_eq_u32_e32 vcc, s0, v24
	s_waitcnt lgkmcnt(0)
	global_store_dwordx2 v[2:3], v[4:5], off
	s_and_b64 exec, exec, vcc
	s_cbranch_execz .LBB0_40
; %bb.39:
	ds_read_b64 v[2:3], v25 offset:9856
	v_add_co_u32_e32 v4, vcc, 0x2000, v1
	v_addc_co_u32_e32 v5, vcc, 0, v0, vcc
	s_waitcnt lgkmcnt(0)
	global_store_dwordx2 v[4:5], v[2:3], off offset:1664
.LBB0_40:
	s_endpgm
	.section	.rodata,"a",@progbits
	.p2align	6, 0x0
	.amdhsa_kernel fft_rtc_fwd_len1232_factors_2_2_2_2_11_7_wgs_176_tpt_176_halfLds_sp_op_CI_CI_unitstride_sbrr_R2C_dirReg
		.amdhsa_group_segment_fixed_size 0
		.amdhsa_private_segment_fixed_size 0
		.amdhsa_kernarg_size 104
		.amdhsa_user_sgpr_count 6
		.amdhsa_user_sgpr_private_segment_buffer 1
		.amdhsa_user_sgpr_dispatch_ptr 0
		.amdhsa_user_sgpr_queue_ptr 0
		.amdhsa_user_sgpr_kernarg_segment_ptr 1
		.amdhsa_user_sgpr_dispatch_id 0
		.amdhsa_user_sgpr_flat_scratch_init 0
		.amdhsa_user_sgpr_private_segment_size 0
		.amdhsa_uses_dynamic_stack 0
		.amdhsa_system_sgpr_private_segment_wavefront_offset 0
		.amdhsa_system_sgpr_workgroup_id_x 1
		.amdhsa_system_sgpr_workgroup_id_y 0
		.amdhsa_system_sgpr_workgroup_id_z 0
		.amdhsa_system_sgpr_workgroup_info 0
		.amdhsa_system_vgpr_workitem_id 0
		.amdhsa_next_free_vgpr 99
		.amdhsa_next_free_sgpr 28
		.amdhsa_reserve_vcc 1
		.amdhsa_reserve_flat_scratch 0
		.amdhsa_float_round_mode_32 0
		.amdhsa_float_round_mode_16_64 0
		.amdhsa_float_denorm_mode_32 3
		.amdhsa_float_denorm_mode_16_64 3
		.amdhsa_dx10_clamp 1
		.amdhsa_ieee_mode 1
		.amdhsa_fp16_overflow 0
		.amdhsa_exception_fp_ieee_invalid_op 0
		.amdhsa_exception_fp_denorm_src 0
		.amdhsa_exception_fp_ieee_div_zero 0
		.amdhsa_exception_fp_ieee_overflow 0
		.amdhsa_exception_fp_ieee_underflow 0
		.amdhsa_exception_fp_ieee_inexact 0
		.amdhsa_exception_int_div_zero 0
	.end_amdhsa_kernel
	.text
.Lfunc_end0:
	.size	fft_rtc_fwd_len1232_factors_2_2_2_2_11_7_wgs_176_tpt_176_halfLds_sp_op_CI_CI_unitstride_sbrr_R2C_dirReg, .Lfunc_end0-fft_rtc_fwd_len1232_factors_2_2_2_2_11_7_wgs_176_tpt_176_halfLds_sp_op_CI_CI_unitstride_sbrr_R2C_dirReg
                                        ; -- End function
	.section	.AMDGPU.csdata,"",@progbits
; Kernel info:
; codeLenInByte = 7488
; NumSgprs: 32
; NumVgprs: 99
; ScratchSize: 0
; MemoryBound: 0
; FloatMode: 240
; IeeeMode: 1
; LDSByteSize: 0 bytes/workgroup (compile time only)
; SGPRBlocks: 3
; VGPRBlocks: 24
; NumSGPRsForWavesPerEU: 32
; NumVGPRsForWavesPerEU: 99
; Occupancy: 2
; WaveLimiterHint : 1
; COMPUTE_PGM_RSRC2:SCRATCH_EN: 0
; COMPUTE_PGM_RSRC2:USER_SGPR: 6
; COMPUTE_PGM_RSRC2:TRAP_HANDLER: 0
; COMPUTE_PGM_RSRC2:TGID_X_EN: 1
; COMPUTE_PGM_RSRC2:TGID_Y_EN: 0
; COMPUTE_PGM_RSRC2:TGID_Z_EN: 0
; COMPUTE_PGM_RSRC2:TIDIG_COMP_CNT: 0
	.type	__hip_cuid_b574e6aea14083fa,@object ; @__hip_cuid_b574e6aea14083fa
	.section	.bss,"aw",@nobits
	.globl	__hip_cuid_b574e6aea14083fa
__hip_cuid_b574e6aea14083fa:
	.byte	0                               ; 0x0
	.size	__hip_cuid_b574e6aea14083fa, 1

	.ident	"AMD clang version 19.0.0git (https://github.com/RadeonOpenCompute/llvm-project roc-6.4.0 25133 c7fe45cf4b819c5991fe208aaa96edf142730f1d)"
	.section	".note.GNU-stack","",@progbits
	.addrsig
	.addrsig_sym __hip_cuid_b574e6aea14083fa
	.amdgpu_metadata
---
amdhsa.kernels:
  - .args:
      - .actual_access:  read_only
        .address_space:  global
        .offset:         0
        .size:           8
        .value_kind:     global_buffer
      - .offset:         8
        .size:           8
        .value_kind:     by_value
      - .actual_access:  read_only
        .address_space:  global
        .offset:         16
        .size:           8
        .value_kind:     global_buffer
      - .actual_access:  read_only
        .address_space:  global
        .offset:         24
        .size:           8
        .value_kind:     global_buffer
      - .actual_access:  read_only
        .address_space:  global
        .offset:         32
        .size:           8
        .value_kind:     global_buffer
      - .offset:         40
        .size:           8
        .value_kind:     by_value
      - .actual_access:  read_only
        .address_space:  global
        .offset:         48
        .size:           8
        .value_kind:     global_buffer
      - .actual_access:  read_only
        .address_space:  global
        .offset:         56
        .size:           8
        .value_kind:     global_buffer
      - .offset:         64
        .size:           4
        .value_kind:     by_value
      - .actual_access:  read_only
        .address_space:  global
        .offset:         72
        .size:           8
        .value_kind:     global_buffer
      - .actual_access:  read_only
        .address_space:  global
        .offset:         80
        .size:           8
        .value_kind:     global_buffer
      - .actual_access:  read_only
        .address_space:  global
        .offset:         88
        .size:           8
        .value_kind:     global_buffer
      - .actual_access:  write_only
        .address_space:  global
        .offset:         96
        .size:           8
        .value_kind:     global_buffer
    .group_segment_fixed_size: 0
    .kernarg_segment_align: 8
    .kernarg_segment_size: 104
    .language:       OpenCL C
    .language_version:
      - 2
      - 0
    .max_flat_workgroup_size: 176
    .name:           fft_rtc_fwd_len1232_factors_2_2_2_2_11_7_wgs_176_tpt_176_halfLds_sp_op_CI_CI_unitstride_sbrr_R2C_dirReg
    .private_segment_fixed_size: 0
    .sgpr_count:     32
    .sgpr_spill_count: 0
    .symbol:         fft_rtc_fwd_len1232_factors_2_2_2_2_11_7_wgs_176_tpt_176_halfLds_sp_op_CI_CI_unitstride_sbrr_R2C_dirReg.kd
    .uniform_work_group_size: 1
    .uses_dynamic_stack: false
    .vgpr_count:     99
    .vgpr_spill_count: 0
    .wavefront_size: 64
amdhsa.target:   amdgcn-amd-amdhsa--gfx906
amdhsa.version:
  - 1
  - 2
...

	.end_amdgpu_metadata
